;; amdgpu-corpus repo=zjin-lcf/HeCBench kind=compiled arch=gfx950 opt=O3
	.amdgcn_target "amdgcn-amd-amdhsa--gfx950"
	.amdhsa_code_object_version 6
	.text
	.protected	_Z17scatterAdd_kernelPKiPKfPfiii ; -- Begin function _Z17scatterAdd_kernelPKiPKfPfiii
	.globl	_Z17scatterAdd_kernelPKiPKfPfiii
	.p2align	8
	.type	_Z17scatterAdd_kernelPKiPKfPfiii,@function
_Z17scatterAdd_kernelPKiPKfPfiii:       ; @_Z17scatterAdd_kernelPKiPKfPfiii
; %bb.0:
	s_load_dwordx4 s[8:11], s[0:1], 0x18
	v_bfe_u32 v11, v0, 10, 10
	v_lshlrev_b32_e32 v8, 6, v11
	v_and_b32_e32 v9, 0x3ff, v0
	v_add_u32_e32 v10, v8, v9
	s_waitcnt lgkmcnt(0)
	s_mul_i32 s9, s10, s9
	s_cmp_gt_i32 s9, 0
	s_cselect_b64 s[12:13], -1, 0
	s_cmp_lt_i32 s9, 1
	s_mov_b32 s11, 0
	s_cbranch_scc1 .LBB0_34
; %bb.1:
	s_cmpk_lt_u32 s9, 0x201
	s_cbranch_scc1 .LBB0_21
; %bb.2:
	s_add_i32 s3, s9, -1
	s_lshr_b32 s3, s3, 9
	s_add_i32 s4, s3, -1
	s_lshr_b32 s16, s4, 1
	s_add_i32 s16, s16, 1
	s_movk_i32 s14, 0x200
	s_cmp_lt_u32 s4, 6
	s_mov_b32 s15, 0
	s_cbranch_scc1 .LBB0_22
; %bb.3:
	v_add_u32_e32 v0, 0x400, v10
	v_add_u32_e32 v2, 0x800, v10
	;; [unrolled: 1-line block ×3, first 2 shown]
	s_and_b32 s17, s16, -4
	v_mov_b32_e32 v1, v0
	v_mov_b32_e32 v3, v2
	;; [unrolled: 1-line block ×4, first 2 shown]
	s_branch .LBB0_5
.LBB0_4:                                ;   in Loop: Header=BB0_5 Depth=1
	s_or_b64 exec, exec, s[4:5]
	s_addk_i32 s14, 0x1000
	s_addk_i32 s15, 0x1000
	s_add_i32 s17, s17, -4
	s_cmp_lg_u32 s17, 0
	s_cbranch_scc0 .LBB0_22
.LBB0_5:                                ; =>This Inner Loop Header: Depth=1
	v_add_u32_e32 v7, s14, v10
	v_add_u32_e32 v12, s15, v10
	v_cmp_gt_i32_e32 vcc, s9, v7
	v_cmp_gt_i32_e64 s[4:5], s9, v12
	s_and_saveexec_b64 s[6:7], s[4:5]
; %bb.6:                                ;   in Loop: Header=BB0_5 Depth=1
	v_lshl_add_u32 v12, v12, 2, 0
	ds_write_b32 v12, v6
; %bb.7:                                ;   in Loop: Header=BB0_5 Depth=1
	s_or_b64 exec, exec, s[6:7]
	s_and_saveexec_b64 s[4:5], vcc
; %bb.8:                                ;   in Loop: Header=BB0_5 Depth=1
	v_lshl_add_u32 v7, v7, 2, 0
	ds_write_b32 v7, v6
; %bb.9:                                ;   in Loop: Header=BB0_5 Depth=1
	s_or_b64 exec, exec, s[4:5]
	v_add_u32_e32 v7, s14, v1
	v_add_u32_e32 v12, s15, v0
	v_cmp_gt_i32_e32 vcc, s9, v7
	v_cmp_gt_i32_e64 s[4:5], s9, v12
	s_and_saveexec_b64 s[6:7], s[4:5]
; %bb.10:                               ;   in Loop: Header=BB0_5 Depth=1
	v_lshl_add_u32 v12, v12, 2, 0
	ds_write_b32 v12, v6
; %bb.11:                               ;   in Loop: Header=BB0_5 Depth=1
	s_or_b64 exec, exec, s[6:7]
	s_and_saveexec_b64 s[4:5], vcc
; %bb.12:                               ;   in Loop: Header=BB0_5 Depth=1
	v_lshl_add_u32 v7, v7, 2, 0
	ds_write_b32 v7, v6
; %bb.13:                               ;   in Loop: Header=BB0_5 Depth=1
	s_or_b64 exec, exec, s[4:5]
	v_add_u32_e32 v7, s14, v3
	v_add_u32_e32 v12, s15, v2
	v_cmp_gt_i32_e32 vcc, s9, v7
	v_cmp_gt_i32_e64 s[4:5], s9, v12
	s_and_saveexec_b64 s[6:7], s[4:5]
; %bb.14:                               ;   in Loop: Header=BB0_5 Depth=1
	v_lshl_add_u32 v12, v12, 2, 0
	ds_write_b32 v12, v6
; %bb.15:                               ;   in Loop: Header=BB0_5 Depth=1
	s_or_b64 exec, exec, s[6:7]
	s_and_saveexec_b64 s[4:5], vcc
; %bb.16:                               ;   in Loop: Header=BB0_5 Depth=1
	v_lshl_add_u32 v7, v7, 2, 0
	ds_write_b32 v7, v6
; %bb.17:                               ;   in Loop: Header=BB0_5 Depth=1
	s_or_b64 exec, exec, s[4:5]
	v_add_u32_e32 v7, s14, v5
	v_add_u32_e32 v12, s15, v4
	v_cmp_gt_i32_e32 vcc, s9, v7
	v_cmp_gt_i32_e64 s[4:5], s9, v12
	s_and_saveexec_b64 s[6:7], s[4:5]
; %bb.18:                               ;   in Loop: Header=BB0_5 Depth=1
	v_lshl_add_u32 v12, v12, 2, 0
	ds_write_b32 v12, v6
; %bb.19:                               ;   in Loop: Header=BB0_5 Depth=1
	s_or_b64 exec, exec, s[6:7]
	s_and_saveexec_b64 s[4:5], vcc
	s_cbranch_execz .LBB0_4
; %bb.20:                               ;   in Loop: Header=BB0_5 Depth=1
	v_lshl_add_u32 v7, v7, 2, 0
	ds_write_b32 v7, v6
	s_branch .LBB0_4
.LBB0_21:
	s_mov_b32 s3, 0
	s_cbranch_execnz .LBB0_30
	s_branch .LBB0_34
.LBB0_22:
	s_and_b32 s16, s16, 3
	s_cmp_eq_u32 s16, 0
	s_cbranch_scc1 .LBB0_29
; %bb.23:
	v_mov_b32_e32 v0, 0
	s_branch .LBB0_25
.LBB0_24:                               ;   in Loop: Header=BB0_25 Depth=1
	s_or_b64 exec, exec, s[4:5]
	s_addk_i32 s14, 0x400
	s_addk_i32 s15, 0x400
	s_add_i32 s16, s16, -1
	s_cmp_lg_u32 s16, 0
	s_cbranch_scc0 .LBB0_29
.LBB0_25:                               ; =>This Inner Loop Header: Depth=1
	v_add_u32_e32 v1, s14, v10
	v_add_u32_e32 v2, s15, v10
	v_cmp_gt_i32_e32 vcc, s9, v1
	v_cmp_gt_i32_e64 s[4:5], s9, v2
	s_and_saveexec_b64 s[6:7], s[4:5]
; %bb.26:                               ;   in Loop: Header=BB0_25 Depth=1
	v_lshl_add_u32 v2, v2, 2, 0
	ds_write_b32 v2, v0
; %bb.27:                               ;   in Loop: Header=BB0_25 Depth=1
	s_or_b64 exec, exec, s[6:7]
	s_and_saveexec_b64 s[4:5], vcc
	s_cbranch_execz .LBB0_24
; %bb.28:                               ;   in Loop: Header=BB0_25 Depth=1
	v_lshl_add_u32 v1, v1, 2, 0
	ds_write_b32 v1, v0
	s_branch .LBB0_24
.LBB0_29:
	s_add_i32 s4, s3, 1
	s_and_b32 s5, s4, 0xfffffe
	s_lshl_b32 s3, s5, 9
	s_cmp_lg_u32 s4, s5
	s_cselect_b64 s[4:5], -1, 0
	s_and_b64 vcc, exec, s[4:5]
	s_cbranch_vccz .LBB0_34
.LBB0_30:
	v_add3_u32 v0, v9, s3, v8
	v_lshl_add_u32 v0, v0, 2, 0
	v_mov_b32_e32 v1, 0
	s_branch .LBB0_32
.LBB0_31:                               ;   in Loop: Header=BB0_32 Depth=1
	s_or_b64 exec, exec, s[4:5]
	s_addk_i32 s3, 0x200
	s_cmp_ge_i32 s3, s9
	v_add_u32_e32 v0, 0x800, v0
	s_cbranch_scc1 .LBB0_34
.LBB0_32:                               ; =>This Inner Loop Header: Depth=1
	v_add_u32_e32 v2, s3, v10
	v_cmp_gt_i32_e32 vcc, s9, v2
	s_and_saveexec_b64 s[4:5], vcc
	s_cbranch_execz .LBB0_31
; %bb.33:                               ;   in Loop: Header=BB0_32 Depth=1
	ds_write_b32 v0, v1
	s_branch .LBB0_31
.LBB0_34:
	s_load_dwordx4 s[4:7], s[0:1], 0x0
	s_load_dwordx2 s[14:15], s[0:1], 0x10
	s_lshl_b32 s0, s9, 2
	s_lshl_b32 s18, s2, 13
	s_add_i32 s19, s0, 0
	s_cmp_lt_i32 s10, 1
	s_cselect_b64 s[0:1], -1, 0
	v_lshlrev_b32_e32 v1, 2, v9
	v_lshl_add_u32 v12, v10, 2, s19
	v_add_u32_e32 v0, 0, v1
	s_lshl_b32 s20, s10, 2
	s_xor_b64 s[0:1], s[0:1], -1
	s_waitcnt lgkmcnt(0)
	s_barrier
	s_branch .LBB0_36
.LBB0_35:                               ;   in Loop: Header=BB0_36 Depth=1
	s_add_i32 s2, s11, 0x200
	s_cmpk_gt_u32 s11, 0x1dff
	s_mov_b32 s11, s2
	s_waitcnt lgkmcnt(0)
	s_barrier
	s_cbranch_scc1 .LBB0_50
.LBB0_36:                               ; =>This Loop Header: Depth=1
                                        ;     Child Loop BB0_40 Depth 2
                                        ;       Child Loop BB0_43 Depth 3
                                        ;       Child Loop BB0_48 Depth 3
	s_add_i32 s21, s11, s18
	v_add_u32_e32 v2, s21, v10
	v_cmp_gt_i32_e32 vcc, s8, v2
	s_and_saveexec_b64 s[2:3], vcc
	s_cbranch_execz .LBB0_38
; %bb.37:                               ;   in Loop: Header=BB0_36 Depth=1
	v_ashrrev_i32_e32 v3, 31, v2
	v_lshl_add_u64 v[2:3], v[2:3], 2, s[4:5]
	global_load_dword v2, v[2:3], off
	s_waitcnt vmcnt(0)
	ds_write_b32 v12, v2
.LBB0_38:                               ;   in Loop: Header=BB0_36 Depth=1
	s_or_b64 exec, exec, s[2:3]
	v_add_u32_e32 v13, s21, v11
	s_mov_b32 s22, 0
	s_waitcnt lgkmcnt(0)
	s_barrier
	s_branch .LBB0_40
.LBB0_39:                               ;   in Loop: Header=BB0_40 Depth=2
	s_or_b64 exec, exec, s[2:3]
	s_add_i32 s22, s22, 16
	s_cmpk_gt_u32 s23, 0x1f7
	s_cbranch_scc1 .LBB0_35
.LBB0_40:                               ;   Parent Loop BB0_36 Depth=1
                                        ; =>  This Loop Header: Depth=2
                                        ;       Child Loop BB0_43 Depth 3
                                        ;       Child Loop BB0_48 Depth 3
	v_add_u32_e32 v3, s22, v11
	v_add_u32_e32 v2, s21, v3
	v_cmp_gt_i32_e32 vcc, s8, v2
	s_and_b64 s[16:17], vcc, s[0:1]
	v_lshl_add_u32 v14, v3, 2, s19
	s_and_saveexec_b64 s[2:3], s[16:17]
	s_cbranch_execz .LBB0_45
; %bb.41:                               ;   in Loop: Header=BB0_40 Depth=2
	ds_read_b32 v4, v14
	v_mad_i64_i32 v[2:3], s[16:17], v2, s10, 0
	v_lshl_add_u64 v[2:3], v[2:3], 2, s[6:7]
	s_mov_b32 s23, 0
	s_waitcnt lgkmcnt(0)
	v_mad_u64_u32 v[4:5], s[16:17], s20, v4, v[0:1]
	s_branch .LBB0_43
.LBB0_42:                               ;   in Loop: Header=BB0_43 Depth=3
	s_or_b64 exec, exec, s[16:17]
	s_add_i32 s23, s23, 64
	s_cmp_lt_i32 s23, s10
	v_add_u32_e32 v4, 0x100, v4
	s_cbranch_scc0 .LBB0_45
.LBB0_43:                               ;   Parent Loop BB0_36 Depth=1
                                        ;     Parent Loop BB0_40 Depth=2
                                        ; =>    This Inner Loop Header: Depth=3
	v_add_u32_e32 v6, s23, v9
	v_cmp_gt_i32_e32 vcc, s10, v6
	s_and_saveexec_b64 s[16:17], vcc
	s_cbranch_execz .LBB0_42
; %bb.44:                               ;   in Loop: Header=BB0_43 Depth=3
	v_ashrrev_i32_e32 v7, 31, v6
	v_lshl_add_u64 v[6:7], v[6:7], 2, v[2:3]
	global_load_dword v5, v[6:7], off
	s_waitcnt vmcnt(0)
	ds_add_f32 v4, v5
	s_branch .LBB0_42
.LBB0_45:                               ;   in Loop: Header=BB0_40 Depth=2
	s_or_b64 exec, exec, s[2:3]
	s_or_b32 s23, s22, 8
	v_add_u32_e32 v2, s23, v13
	v_cmp_gt_i32_e32 vcc, s8, v2
	s_and_b64 s[16:17], vcc, s[0:1]
	s_and_saveexec_b64 s[2:3], s[16:17]
	s_cbranch_execz .LBB0_39
; %bb.46:                               ;   in Loop: Header=BB0_40 Depth=2
	ds_read_b32 v4, v14 offset:32
	v_mad_i64_i32 v[2:3], s[16:17], v2, s10, 0
	v_lshl_add_u64 v[2:3], v[2:3], 2, s[6:7]
	s_mov_b32 s24, 0
	s_waitcnt lgkmcnt(0)
	v_mad_u64_u32 v[4:5], s[16:17], s20, v4, v[0:1]
	s_branch .LBB0_48
.LBB0_47:                               ;   in Loop: Header=BB0_48 Depth=3
	s_or_b64 exec, exec, s[16:17]
	s_add_i32 s24, s24, 64
	s_cmp_lt_i32 s24, s10
	v_add_u32_e32 v4, 0x100, v4
	s_cbranch_scc0 .LBB0_39
.LBB0_48:                               ;   Parent Loop BB0_36 Depth=1
                                        ;     Parent Loop BB0_40 Depth=2
                                        ; =>    This Inner Loop Header: Depth=3
	v_add_u32_e32 v6, s24, v9
	v_cmp_gt_i32_e32 vcc, s10, v6
	s_and_saveexec_b64 s[16:17], vcc
	s_cbranch_execz .LBB0_47
; %bb.49:                               ;   in Loop: Header=BB0_48 Depth=3
	v_ashrrev_i32_e32 v7, 31, v6
	v_lshl_add_u64 v[6:7], v[6:7], 2, v[2:3]
	global_load_dword v5, v[6:7], off
	s_waitcnt vmcnt(0)
	ds_add_f32 v4, v5
	s_branch .LBB0_47
.LBB0_50:
	s_andn2_b64 vcc, exec, s[12:13]
	s_cbranch_vccnz .LBB0_75
; %bb.51:
	s_add_i32 s0, s9, -1
	s_lshr_b32 s2, s0, 9
	s_add_i32 s2, s2, 1
	s_cmpk_lt_u32 s9, 0xe01
	s_mov_b32 s3, 0
	s_cbranch_scc1 .LBB0_70
; %bb.52:
	v_lshlrev_b32_e32 v0, 8, v11
	s_and_b32 s4, s2, 0xfffff8
	v_add3_u32 v4, v0, v1, 0
	v_mov_b32_e32 v1, 0
	s_branch .LBB0_54
.LBB0_53:                               ;   in Loop: Header=BB0_54 Depth=1
	s_or_b64 exec, exec, s[0:1]
	s_addk_i32 s3, 0x1000
	s_add_i32 s4, s4, -8
	s_cmp_eq_u32 s4, 0
	v_add_u32_e32 v4, 0x4000, v4
	s_cbranch_scc1 .LBB0_70
.LBB0_54:                               ; =>This Inner Loop Header: Depth=1
	v_add_u32_e32 v0, s3, v10
	v_cmp_gt_i32_e32 vcc, s9, v0
	s_and_saveexec_b64 s[0:1], vcc
	s_cbranch_execz .LBB0_56
; %bb.55:                               ;   in Loop: Header=BB0_54 Depth=1
	ds_read_b32 v5, v4
	v_lshl_add_u64 v[2:3], v[0:1], 2, s[14:15]
	s_waitcnt lgkmcnt(0)
	global_atomic_add_f32 v[2:3], v5, off
.LBB0_56:                               ;   in Loop: Header=BB0_54 Depth=1
	s_or_b64 exec, exec, s[0:1]
	v_add_u32_e32 v2, 0x200, v0
	v_cmp_gt_i32_e32 vcc, s9, v2
	s_and_saveexec_b64 s[0:1], vcc
	s_cbranch_execz .LBB0_58
; %bb.57:                               ;   in Loop: Header=BB0_54 Depth=1
	ds_read_b32 v5, v4 offset:2048
	v_lshl_add_u64 v[2:3], v[0:1], 2, s[14:15]
	s_waitcnt lgkmcnt(0)
	global_atomic_add_f32 v[2:3], v5, off offset:2048
.LBB0_58:                               ;   in Loop: Header=BB0_54 Depth=1
	s_or_b64 exec, exec, s[0:1]
	v_add_u32_e32 v2, 0x400, v0
	v_cmp_gt_i32_e32 vcc, s9, v2
	s_and_saveexec_b64 s[0:1], vcc
	s_cbranch_execz .LBB0_60
; %bb.59:                               ;   in Loop: Header=BB0_54 Depth=1
	ds_read_b32 v5, v4 offset:4096
	v_mov_b32_e32 v3, v1
	v_lshl_add_u64 v[2:3], v[2:3], 2, s[14:15]
	s_waitcnt lgkmcnt(0)
	global_atomic_add_f32 v[2:3], v5, off
.LBB0_60:                               ;   in Loop: Header=BB0_54 Depth=1
	s_or_b64 exec, exec, s[0:1]
	v_add_u32_e32 v2, 0x600, v0
	v_cmp_gt_i32_e32 vcc, s9, v2
	s_and_saveexec_b64 s[0:1], vcc
	s_cbranch_execz .LBB0_62
; %bb.61:                               ;   in Loop: Header=BB0_54 Depth=1
	ds_read_b32 v5, v4 offset:6144
	v_mov_b32_e32 v3, v1
	v_lshl_add_u64 v[2:3], v[2:3], 2, s[14:15]
	s_waitcnt lgkmcnt(0)
	global_atomic_add_f32 v[2:3], v5, off
.LBB0_62:                               ;   in Loop: Header=BB0_54 Depth=1
	;; [unrolled: 12-line block ×5, first 2 shown]
	s_or_b64 exec, exec, s[0:1]
	v_add_u32_e32 v0, 0xe00, v0
	v_cmp_gt_i32_e32 vcc, s9, v0
	s_and_saveexec_b64 s[0:1], vcc
	s_cbranch_execz .LBB0_53
; %bb.69:                               ;   in Loop: Header=BB0_54 Depth=1
	ds_read_b32 v5, v4 offset:14336
	v_lshl_add_u64 v[2:3], v[0:1], 2, s[14:15]
	s_waitcnt lgkmcnt(0)
	global_atomic_add_f32 v[2:3], v5, off
	s_branch .LBB0_53
.LBB0_70:
	s_and_b32 s0, s2, 7
	s_cmp_eq_u32 s0, 0
	s_cbranch_scc1 .LBB0_75
; %bb.71:
	v_add3_u32 v0, v9, s3, v8
	v_lshl_add_u32 v2, v0, 2, 0
	s_lshl_b32 s2, s0, 2
	v_mov_b32_e32 v1, 0
	s_branch .LBB0_73
.LBB0_72:                               ;   in Loop: Header=BB0_73 Depth=1
	s_or_b64 exec, exec, s[0:1]
	s_add_i32 s2, s2, -4
	v_add_u32_e32 v2, 0x800, v2
	s_cmp_lg_u32 s2, 0
	v_add_u32_e32 v0, 0x200, v0
	s_cbranch_scc0 .LBB0_75
.LBB0_73:                               ; =>This Inner Loop Header: Depth=1
	v_cmp_gt_i32_e32 vcc, s9, v0
	s_and_saveexec_b64 s[0:1], vcc
	s_cbranch_execz .LBB0_72
; %bb.74:                               ;   in Loop: Header=BB0_73 Depth=1
	ds_read_b32 v3, v2
	v_lshl_add_u64 v[4:5], v[0:1], 2, s[14:15]
	s_waitcnt lgkmcnt(0)
	global_atomic_add_f32 v[4:5], v3, off
	s_branch .LBB0_72
.LBB0_75:
	s_endpgm
	.section	.rodata,"a",@progbits
	.p2align	6, 0x0
	.amdhsa_kernel _Z17scatterAdd_kernelPKiPKfPfiii
		.amdhsa_group_segment_fixed_size 0
		.amdhsa_private_segment_fixed_size 0
		.amdhsa_kernarg_size 36
		.amdhsa_user_sgpr_count 2
		.amdhsa_user_sgpr_dispatch_ptr 0
		.amdhsa_user_sgpr_queue_ptr 0
		.amdhsa_user_sgpr_kernarg_segment_ptr 1
		.amdhsa_user_sgpr_dispatch_id 0
		.amdhsa_user_sgpr_kernarg_preload_length 0
		.amdhsa_user_sgpr_kernarg_preload_offset 0
		.amdhsa_user_sgpr_private_segment_size 0
		.amdhsa_uses_dynamic_stack 0
		.amdhsa_enable_private_segment 0
		.amdhsa_system_sgpr_workgroup_id_x 1
		.amdhsa_system_sgpr_workgroup_id_y 0
		.amdhsa_system_sgpr_workgroup_id_z 0
		.amdhsa_system_sgpr_workgroup_info 0
		.amdhsa_system_vgpr_workitem_id 1
		.amdhsa_next_free_vgpr 15
		.amdhsa_next_free_sgpr 25
		.amdhsa_accum_offset 16
		.amdhsa_reserve_vcc 1
		.amdhsa_float_round_mode_32 0
		.amdhsa_float_round_mode_16_64 0
		.amdhsa_float_denorm_mode_32 3
		.amdhsa_float_denorm_mode_16_64 3
		.amdhsa_dx10_clamp 1
		.amdhsa_ieee_mode 1
		.amdhsa_fp16_overflow 0
		.amdhsa_tg_split 0
		.amdhsa_exception_fp_ieee_invalid_op 0
		.amdhsa_exception_fp_denorm_src 0
		.amdhsa_exception_fp_ieee_div_zero 0
		.amdhsa_exception_fp_ieee_overflow 0
		.amdhsa_exception_fp_ieee_underflow 0
		.amdhsa_exception_fp_ieee_inexact 0
		.amdhsa_exception_int_div_zero 0
	.end_amdhsa_kernel
	.text
.Lfunc_end0:
	.size	_Z17scatterAdd_kernelPKiPKfPfiii, .Lfunc_end0-_Z17scatterAdd_kernelPKiPKfPfiii
                                        ; -- End function
	.set _Z17scatterAdd_kernelPKiPKfPfiii.num_vgpr, 15
	.set _Z17scatterAdd_kernelPKiPKfPfiii.num_agpr, 0
	.set _Z17scatterAdd_kernelPKiPKfPfiii.numbered_sgpr, 25
	.set _Z17scatterAdd_kernelPKiPKfPfiii.num_named_barrier, 0
	.set _Z17scatterAdd_kernelPKiPKfPfiii.private_seg_size, 0
	.set _Z17scatterAdd_kernelPKiPKfPfiii.uses_vcc, 1
	.set _Z17scatterAdd_kernelPKiPKfPfiii.uses_flat_scratch, 0
	.set _Z17scatterAdd_kernelPKiPKfPfiii.has_dyn_sized_stack, 0
	.set _Z17scatterAdd_kernelPKiPKfPfiii.has_recursion, 0
	.set _Z17scatterAdd_kernelPKiPKfPfiii.has_indirect_call, 0
	.section	.AMDGPU.csdata,"",@progbits
; Kernel info:
; codeLenInByte = 1820
; TotalNumSgprs: 31
; NumVgprs: 15
; NumAgprs: 0
; TotalNumVgprs: 15
; ScratchSize: 0
; MemoryBound: 0
; FloatMode: 240
; IeeeMode: 1
; LDSByteSize: 0 bytes/workgroup (compile time only)
; SGPRBlocks: 3
; VGPRBlocks: 1
; NumSGPRsForWavesPerEU: 31
; NumVGPRsForWavesPerEU: 15
; AccumOffset: 16
; Occupancy: 8
; WaveLimiterHint : 0
; COMPUTE_PGM_RSRC2:SCRATCH_EN: 0
; COMPUTE_PGM_RSRC2:USER_SGPR: 2
; COMPUTE_PGM_RSRC2:TRAP_HANDLER: 0
; COMPUTE_PGM_RSRC2:TGID_X_EN: 1
; COMPUTE_PGM_RSRC2:TGID_Y_EN: 0
; COMPUTE_PGM_RSRC2:TGID_Z_EN: 0
; COMPUTE_PGM_RSRC2:TIDIG_COMP_CNT: 1
; COMPUTE_PGM_RSRC3_GFX90A:ACCUM_OFFSET: 3
; COMPUTE_PGM_RSRC3_GFX90A:TG_SPLIT: 0
	.text
	.protected	_Z18scatterAdd2_kernelPKiPKfPfiii ; -- Begin function _Z18scatterAdd2_kernelPKiPKfPfiii
	.globl	_Z18scatterAdd2_kernelPKiPKfPfiii
	.p2align	8
	.type	_Z18scatterAdd2_kernelPKiPKfPfiii,@function
_Z18scatterAdd2_kernelPKiPKfPfiii:      ; @_Z18scatterAdd2_kernelPKiPKfPfiii
; %bb.0:
	s_load_dwordx4 s[8:11], s[0:1], 0x18
	v_bfe_u32 v3, v0, 10, 10
	v_and_b32_e32 v12, 0x3ff, v0
	v_lshl_add_u32 v7, v3, 6, v12
	v_lshlrev_b32_e32 v0, 2, v12
	s_waitcnt lgkmcnt(0)
	s_mul_i32 s9, s10, s9
	v_cmp_gt_i32_e32 vcc, s9, v7
	v_cmp_le_i32_e64 s[4:5], s9, v7
                                        ; implicit-def: $vgpr13
	s_and_saveexec_b64 s[6:7], s[4:5]
	s_xor_b64 s[4:5], exec, s[6:7]
; %bb.1:
	v_lshlrev_b32_e32 v13, 2, v12
; %bb.2:
	s_or_saveexec_b64 s[6:7], s[4:5]
	v_lshlrev_b32_e32 v2, 8, v3
	s_xor_b64 exec, exec, s[6:7]
	s_cbranch_execz .LBB1_6
; %bb.3:
	v_add3_u32 v1, v2, v0, 0
	s_mov_b64 s[12:13], 0
	v_mov_b32_e32 v4, 0
	v_mov_b32_e32 v5, v7
.LBB1_4:                                ; =>This Inner Loop Header: Depth=1
	v_add_u32_e32 v5, 0x200, v5
	v_cmp_le_i32_e64 s[4:5], s9, v5
	ds_write_b32 v1, v4
	s_or_b64 s[12:13], s[4:5], s[12:13]
	v_add_u32_e32 v1, 0x800, v1
	s_andn2_b64 exec, exec, s[12:13]
	s_cbranch_execnz .LBB1_4
; %bb.5:
	s_or_b64 exec, exec, s[12:13]
	v_mov_b32_e32 v13, v0
.LBB1_6:
	s_or_b64 exec, exec, s[6:7]
	s_load_dwordx4 s[4:7], s[0:1], 0x0
	s_load_dwordx2 s[12:13], s[0:1], 0x10
	s_lshl_b32 s20, s2, 13
	s_lshl_b32 s0, s9, 2
	s_add_i32 s21, s0, 0
	v_cmp_le_i32_e64 s[0:1], s10, v12
	s_ashr_i32 s11, s10, 31
	v_mov_b32_e32 v1, 0
	v_or_b32_e32 v15, s20, v3
	s_mov_b32 s22, 0
	v_lshl_add_u32 v14, v7, 2, s21
	s_waitcnt lgkmcnt(0)
	v_lshl_add_u64 v[4:5], s[6:7], 0, v[0:1]
	s_lshl_b64 s[2:3], s[10:11], 2
	v_add_u32_e32 v6, 0, v13
	s_lshl_b32 s11, s10, 2
	v_add_u32_e32 v16, 8, v15
	s_xor_b64 s[6:7], s[0:1], -1
	s_mov_b64 s[14:15], 0x100
	s_branch .LBB1_8
.LBB1_7:                                ;   in Loop: Header=BB1_8 Depth=1
	s_add_i32 s0, s22, 0x200
	v_add_u32_e32 v15, 0x200, v15
	v_add_u32_e32 v16, 0x200, v16
	s_cmpk_gt_u32 s22, 0x1dff
	s_mov_b32 s22, s0
	s_waitcnt lgkmcnt(0)
	s_barrier
	s_cbranch_scc1 .LBB1_18
.LBB1_8:                                ; =>This Loop Header: Depth=1
                                        ;     Child Loop BB1_12 Depth 2
                                        ;       Child Loop BB1_14 Depth 3
                                        ;       Child Loop BB1_17 Depth 3
	s_add_i32 s23, s22, s20
	v_add_u32_e32 v8, s23, v7
	v_cmp_gt_i32_e64 s[0:1], s8, v8
	s_and_saveexec_b64 s[16:17], s[0:1]
	s_cbranch_execz .LBB1_10
; %bb.9:                                ;   in Loop: Header=BB1_8 Depth=1
	v_ashrrev_i32_e32 v9, 31, v8
	v_lshl_add_u64 v[8:9], v[8:9], 2, s[4:5]
	global_load_dword v8, v[8:9], off
	s_waitcnt vmcnt(0)
	ds_write_b32 v14, v8
.LBB1_10:                               ;   in Loop: Header=BB1_8 Depth=1
	s_or_b64 exec, exec, s[16:17]
	v_add_u32_e32 v17, s23, v3
	s_mov_b32 s24, 0
	v_mov_b32_e32 v18, v16
	v_mov_b32_e32 v19, v15
	s_waitcnt lgkmcnt(0)
	s_barrier
	s_branch .LBB1_12
.LBB1_11:                               ;   in Loop: Header=BB1_12 Depth=2
	s_or_b64 exec, exec, s[16:17]
	s_add_i32 s24, s24, 16
	v_add_u32_e32 v19, 16, v19
	s_cmpk_gt_u32 s25, 0x1f7
	v_add_u32_e32 v18, 16, v18
	s_cbranch_scc1 .LBB1_7
.LBB1_12:                               ;   Parent Loop BB1_8 Depth=1
                                        ; =>  This Loop Header: Depth=2
                                        ;       Child Loop BB1_14 Depth 3
                                        ;       Child Loop BB1_17 Depth 3
	v_add_u32_e32 v8, s24, v3
	v_add_u32_e32 v9, s23, v8
	v_cmp_gt_i32_e64 s[0:1], s8, v9
	s_and_b64 s[0:1], s[0:1], s[6:7]
	v_lshl_add_u32 v20, v8, 2, s21
	s_and_saveexec_b64 s[16:17], s[0:1]
	s_cbranch_execz .LBB1_15
; %bb.13:                               ;   in Loop: Header=BB1_12 Depth=2
	ds_read_b32 v11, v20
	v_ashrrev_i32_e32 v10, 31, v19
	v_mad_u64_u32 v[8:9], s[0:1], s2, v19, v[4:5]
	v_mul_lo_u32 v21, s3, v19
	v_mul_lo_u32 v10, s2, v10
	v_add3_u32 v9, v21, v9, v10
	s_waitcnt lgkmcnt(0)
	v_mad_u64_u32 v[10:11], s[0:1], s11, v11, v[6:7]
	s_mov_b64 s[18:19], 0
	v_mov_b32_e32 v11, v12
.LBB1_14:                               ;   Parent Loop BB1_8 Depth=1
                                        ;     Parent Loop BB1_12 Depth=2
                                        ; =>    This Inner Loop Header: Depth=3
	global_load_dword v21, v[8:9], off
	v_add_u32_e32 v11, 64, v11
	v_cmp_le_i32_e64 s[0:1], s10, v11
	v_lshl_add_u64 v[8:9], v[8:9], 0, s[14:15]
	s_or_b64 s[18:19], s[0:1], s[18:19]
	s_waitcnt vmcnt(0)
	ds_add_f32 v10, v21
	v_add_u32_e32 v10, 0x100, v10
	s_andn2_b64 exec, exec, s[18:19]
	s_cbranch_execnz .LBB1_14
.LBB1_15:                               ;   in Loop: Header=BB1_12 Depth=2
	s_or_b64 exec, exec, s[16:17]
	s_or_b32 s25, s24, 8
	v_add_u32_e32 v8, s25, v17
	v_cmp_gt_i32_e64 s[0:1], s8, v8
	s_and_b64 s[0:1], s[0:1], s[6:7]
	s_and_saveexec_b64 s[16:17], s[0:1]
	s_cbranch_execz .LBB1_11
; %bb.16:                               ;   in Loop: Header=BB1_12 Depth=2
	ds_read_b32 v11, v20 offset:32
	v_ashrrev_i32_e32 v10, 31, v18
	v_mad_u64_u32 v[8:9], s[0:1], s2, v18, v[4:5]
	v_mul_lo_u32 v20, s3, v18
	v_mul_lo_u32 v10, s2, v10
	v_add3_u32 v9, v20, v9, v10
	s_waitcnt lgkmcnt(0)
	v_mad_u64_u32 v[10:11], s[0:1], s11, v11, v[6:7]
	s_mov_b64 s[18:19], 0
	v_mov_b32_e32 v11, v12
.LBB1_17:                               ;   Parent Loop BB1_8 Depth=1
                                        ;     Parent Loop BB1_12 Depth=2
                                        ; =>    This Inner Loop Header: Depth=3
	global_load_dword v20, v[8:9], off
	v_add_u32_e32 v11, 64, v11
	v_cmp_le_i32_e64 s[0:1], s10, v11
	v_lshl_add_u64 v[8:9], v[8:9], 0, s[14:15]
	s_or_b64 s[18:19], s[0:1], s[18:19]
	s_waitcnt vmcnt(0)
	ds_add_f32 v10, v20
	v_add_u32_e32 v10, 0x100, v10
	s_andn2_b64 exec, exec, s[18:19]
	s_cbranch_execnz .LBB1_17
	s_branch .LBB1_11
.LBB1_18:
	s_and_saveexec_b64 s[0:1], vcc
	s_cbranch_execz .LBB1_21
; %bb.19:
	v_mov_b32_e32 v3, 0
	v_lshl_add_u64 v[0:1], v[2:3], 0, v[0:1]
	v_lshl_add_u64 v[0:1], s[12:13], 0, v[0:1]
	v_add3_u32 v2, v2, v13, 0
	s_mov_b64 s[0:1], 0
	s_mov_b64 s[2:3], 0x800
.LBB1_20:                               ; =>This Inner Loop Header: Depth=1
	ds_read_b32 v3, v2
	v_add_u32_e32 v7, 0x200, v7
	v_cmp_le_i32_e32 vcc, s9, v7
	v_add_u32_e32 v2, 0x800, v2
	s_or_b64 s[0:1], vcc, s[0:1]
	s_waitcnt lgkmcnt(0)
	global_atomic_add_f32 v[0:1], v3, off
	v_lshl_add_u64 v[0:1], v[0:1], 0, s[2:3]
	s_andn2_b64 exec, exec, s[0:1]
	s_cbranch_execnz .LBB1_20
.LBB1_21:
	s_endpgm
	.section	.rodata,"a",@progbits
	.p2align	6, 0x0
	.amdhsa_kernel _Z18scatterAdd2_kernelPKiPKfPfiii
		.amdhsa_group_segment_fixed_size 0
		.amdhsa_private_segment_fixed_size 0
		.amdhsa_kernarg_size 36
		.amdhsa_user_sgpr_count 2
		.amdhsa_user_sgpr_dispatch_ptr 0
		.amdhsa_user_sgpr_queue_ptr 0
		.amdhsa_user_sgpr_kernarg_segment_ptr 1
		.amdhsa_user_sgpr_dispatch_id 0
		.amdhsa_user_sgpr_kernarg_preload_length 0
		.amdhsa_user_sgpr_kernarg_preload_offset 0
		.amdhsa_user_sgpr_private_segment_size 0
		.amdhsa_uses_dynamic_stack 0
		.amdhsa_enable_private_segment 0
		.amdhsa_system_sgpr_workgroup_id_x 1
		.amdhsa_system_sgpr_workgroup_id_y 0
		.amdhsa_system_sgpr_workgroup_id_z 0
		.amdhsa_system_sgpr_workgroup_info 0
		.amdhsa_system_vgpr_workitem_id 1
		.amdhsa_next_free_vgpr 22
		.amdhsa_next_free_sgpr 26
		.amdhsa_accum_offset 24
		.amdhsa_reserve_vcc 1
		.amdhsa_float_round_mode_32 0
		.amdhsa_float_round_mode_16_64 0
		.amdhsa_float_denorm_mode_32 3
		.amdhsa_float_denorm_mode_16_64 3
		.amdhsa_dx10_clamp 1
		.amdhsa_ieee_mode 1
		.amdhsa_fp16_overflow 0
		.amdhsa_tg_split 0
		.amdhsa_exception_fp_ieee_invalid_op 0
		.amdhsa_exception_fp_denorm_src 0
		.amdhsa_exception_fp_ieee_div_zero 0
		.amdhsa_exception_fp_ieee_overflow 0
		.amdhsa_exception_fp_ieee_underflow 0
		.amdhsa_exception_fp_ieee_inexact 0
		.amdhsa_exception_int_div_zero 0
	.end_amdhsa_kernel
	.text
.Lfunc_end1:
	.size	_Z18scatterAdd2_kernelPKiPKfPfiii, .Lfunc_end1-_Z18scatterAdd2_kernelPKiPKfPfiii
                                        ; -- End function
	.set _Z18scatterAdd2_kernelPKiPKfPfiii.num_vgpr, 22
	.set _Z18scatterAdd2_kernelPKiPKfPfiii.num_agpr, 0
	.set _Z18scatterAdd2_kernelPKiPKfPfiii.numbered_sgpr, 26
	.set _Z18scatterAdd2_kernelPKiPKfPfiii.num_named_barrier, 0
	.set _Z18scatterAdd2_kernelPKiPKfPfiii.private_seg_size, 0
	.set _Z18scatterAdd2_kernelPKiPKfPfiii.uses_vcc, 1
	.set _Z18scatterAdd2_kernelPKiPKfPfiii.uses_flat_scratch, 0
	.set _Z18scatterAdd2_kernelPKiPKfPfiii.has_dyn_sized_stack, 0
	.set _Z18scatterAdd2_kernelPKiPKfPfiii.has_recursion, 0
	.set _Z18scatterAdd2_kernelPKiPKfPfiii.has_indirect_call, 0
	.section	.AMDGPU.csdata,"",@progbits
; Kernel info:
; codeLenInByte = 852
; TotalNumSgprs: 32
; NumVgprs: 22
; NumAgprs: 0
; TotalNumVgprs: 22
; ScratchSize: 0
; MemoryBound: 0
; FloatMode: 240
; IeeeMode: 1
; LDSByteSize: 0 bytes/workgroup (compile time only)
; SGPRBlocks: 3
; VGPRBlocks: 2
; NumSGPRsForWavesPerEU: 32
; NumVGPRsForWavesPerEU: 22
; AccumOffset: 24
; Occupancy: 8
; WaveLimiterHint : 0
; COMPUTE_PGM_RSRC2:SCRATCH_EN: 0
; COMPUTE_PGM_RSRC2:USER_SGPR: 2
; COMPUTE_PGM_RSRC2:TRAP_HANDLER: 0
; COMPUTE_PGM_RSRC2:TGID_X_EN: 1
; COMPUTE_PGM_RSRC2:TGID_Y_EN: 0
; COMPUTE_PGM_RSRC2:TGID_Z_EN: 0
; COMPUTE_PGM_RSRC2:TIDIG_COMP_CNT: 1
; COMPUTE_PGM_RSRC3_GFX90A:ACCUM_OFFSET: 5
; COMPUTE_PGM_RSRC3_GFX90A:TG_SPLIT: 0
	.text
	.p2alignl 6, 3212836864
	.fill 256, 4, 3212836864
	.section	.AMDGPU.gpr_maximums,"",@progbits
	.set amdgpu.max_num_vgpr, 0
	.set amdgpu.max_num_agpr, 0
	.set amdgpu.max_num_sgpr, 0
	.text
	.type	__hip_cuid_ed63aff12ebbc683,@object ; @__hip_cuid_ed63aff12ebbc683
	.section	.bss,"aw",@nobits
	.globl	__hip_cuid_ed63aff12ebbc683
__hip_cuid_ed63aff12ebbc683:
	.byte	0                               ; 0x0
	.size	__hip_cuid_ed63aff12ebbc683, 1

	.ident	"AMD clang version 22.0.0git (https://github.com/RadeonOpenCompute/llvm-project roc-7.2.4 26084 f58b06dce1f9c15707c5f808fd002e18c2accf7e)"
	.section	".note.GNU-stack","",@progbits
	.addrsig
	.addrsig_sym buffer
	.addrsig_sym __hip_cuid_ed63aff12ebbc683
	.amdgpu_metadata
---
amdhsa.kernels:
  - .agpr_count:     0
    .args:
      - .address_space:  global
        .offset:         0
        .size:           8
        .value_kind:     global_buffer
      - .address_space:  global
        .offset:         8
        .size:           8
        .value_kind:     global_buffer
      - .address_space:  global
        .offset:         16
        .size:           8
        .value_kind:     global_buffer
      - .offset:         24
        .size:           4
        .value_kind:     by_value
      - .offset:         28
        .size:           4
        .value_kind:     by_value
      - .offset:         32
        .size:           4
        .value_kind:     by_value
    .group_segment_fixed_size: 0
    .kernarg_segment_align: 8
    .kernarg_segment_size: 36
    .language:       OpenCL C
    .language_version:
      - 2
      - 0
    .max_flat_workgroup_size: 1024
    .name:           _Z17scatterAdd_kernelPKiPKfPfiii
    .private_segment_fixed_size: 0
    .sgpr_count:     31
    .sgpr_spill_count: 0
    .symbol:         _Z17scatterAdd_kernelPKiPKfPfiii.kd
    .uniform_work_group_size: 1
    .uses_dynamic_stack: false
    .vgpr_count:     15
    .vgpr_spill_count: 0
    .wavefront_size: 64
  - .agpr_count:     0
    .args:
      - .address_space:  global
        .offset:         0
        .size:           8
        .value_kind:     global_buffer
      - .address_space:  global
        .offset:         8
        .size:           8
        .value_kind:     global_buffer
      - .address_space:  global
        .offset:         16
        .size:           8
        .value_kind:     global_buffer
      - .offset:         24
        .size:           4
        .value_kind:     by_value
      - .offset:         28
        .size:           4
        .value_kind:     by_value
      - .offset:         32
        .size:           4
        .value_kind:     by_value
    .group_segment_fixed_size: 0
    .kernarg_segment_align: 8
    .kernarg_segment_size: 36
    .language:       OpenCL C
    .language_version:
      - 2
      - 0
    .max_flat_workgroup_size: 1024
    .name:           _Z18scatterAdd2_kernelPKiPKfPfiii
    .private_segment_fixed_size: 0
    .sgpr_count:     32
    .sgpr_spill_count: 0
    .symbol:         _Z18scatterAdd2_kernelPKiPKfPfiii.kd
    .uniform_work_group_size: 1
    .uses_dynamic_stack: false
    .vgpr_count:     22
    .vgpr_spill_count: 0
    .wavefront_size: 64
amdhsa.target:   amdgcn-amd-amdhsa--gfx950
amdhsa.version:
  - 1
  - 2
...

	.end_amdgpu_metadata
